;; amdgpu-corpus repo=zjin-lcf/HeCBench kind=compiled arch=gfx950 opt=O3
	.amdgcn_target "amdgcn-amd-amdhsa--gfx950"
	.amdhsa_code_object_version 6
	.text
	.protected	_Z15nbnxmKernelTestPK15HIP_vector_typeIfLj4EEPN3gmx11BasicVectorIfEES6_S6_P11nbnxn_cj4_tPK9nbnxn_sciPK12nbnxn_excl_tPKiPKS_IfLj2EEifffb ; -- Begin function _Z15nbnxmKernelTestPK15HIP_vector_typeIfLj4EEPN3gmx11BasicVectorIfEES6_S6_P11nbnxn_cj4_tPK9nbnxn_sciPK12nbnxn_excl_tPKiPKS_IfLj2EEifffb
	.globl	_Z15nbnxmKernelTestPK15HIP_vector_typeIfLj4EEPN3gmx11BasicVectorIfEES6_S6_P11nbnxn_cj4_tPK9nbnxn_sciPK12nbnxn_excl_tPKiPKS_IfLj2EEifffb
	.p2align	8
	.type	_Z15nbnxmKernelTestPK15HIP_vector_typeIfLj4EEPN3gmx11BasicVectorIfEES6_S6_P11nbnxn_cj4_tPK9nbnxn_sciPK12nbnxn_excl_tPKiPKS_IfLj2EEifffb,@function
_Z15nbnxmKernelTestPK15HIP_vector_typeIfLj4EEPN3gmx11BasicVectorIfEES6_S6_P11nbnxn_cj4_tPK9nbnxn_sciPK12nbnxn_excl_tPKiPKS_IfLj2EEifffb: ; @_Z15nbnxmKernelTestPK15HIP_vector_typeIfLj4EEPN3gmx11BasicVectorIfEES6_S6_P11nbnxn_cj4_tPK9nbnxn_sciPK12nbnxn_excl_tPKiPKS_IfLj2EEifffb
; %bb.0:
	s_load_dwordx2 s[4:5], s[0:1], 0x28
	s_load_dwordx2 s[20:21], s[0:1], 0x38
	s_mov_b32 s2, s3
	s_mov_b32 s3, 0
	s_lshl_b64 s[2:3], s[2:3], 4
	s_waitcnt lgkmcnt(0)
	s_add_u32 s2, s4, s2
	s_addc_u32 s3, s5, s3
	s_load_dwordx4 s[4:7], s[2:3], 0x0
	s_load_dwordx8 s[8:15], s[0:1], 0x0
	v_and_b32_e32 v48, 0x3ff, v0
	v_bfe_u32 v45, v0, 10, 10
	v_lshl_add_u32 v49, v45, 3, v48
	s_waitcnt lgkmcnt(0)
	s_lshl_b32 s49, s4, 6
	v_add_u32_e32 v4, s49, v49
	v_ashrrev_i32_e32 v5, 31, v4
	v_lshl_add_u64 v[0:1], v[4:5], 4, s[8:9]
	global_load_dwordx4 v[0:3], v[0:1], off
	v_lshl_add_u64 v[4:5], v[4:5], 2, s[20:21]
	global_load_dword v4, v[4:5], off
	s_mul_i32 s48, s5, 12
	s_mul_hi_i32 s33, s5, 12
	s_add_u32 s2, s12, s48
	s_addc_u32 s3, s13, s33
	s_load_dword s50, s[0:1], 0x58
	s_load_dwordx4 s[16:19], s[0:1], 0x48
	s_load_dwordx2 s[22:23], s[2:3], 0x0
	s_load_dword s24, s[2:3], 0x8
	s_cmp_lg_u32 s5, 22
	v_lshlrev_b32_e32 v5, 4, v49
	s_cselect_b64 s[12:13], -1, 0
	s_cmp_ge_i32 s6, s7
	v_mad_i32_i24 v6, v49, -12, v5
	s_waitcnt vmcnt(1)
	v_add_f32_e32 v3, 0, v3
	s_waitcnt lgkmcnt(0)
	v_add_f32_e32 v2, s24, v2
	v_pk_add_f32 v[0:1], s[22:23], v[0:1]
	v_mul_f32_e32 v3, s19, v3
	ds_write_b128 v5, v[0:3]
	s_waitcnt vmcnt(0)
	ds_write_b32 v6, v4 offset:1792
	s_waitcnt lgkmcnt(0)
	s_barrier
	s_cbranch_scc1 .LBB0_42
; %bb.1:
	v_lshlrev_b32_e32 v52, 4, v48
	v_mad_i32_i24 v53, v48, -12, v52
	v_mad_u32_u24 v54, v48, 12, v53
	v_mad_i32_i24 v55, v48, -12, v54
	v_mad_u32_u24 v56, v48, 12, v55
	;; [unrolled: 2-line block ×4, first 2 shown]
	s_load_dwordx2 s[22:23], s[0:1], 0x40
	s_load_dwordx2 s[24:25], s[0:1], 0x20
	;; [unrolled: 1-line block ×3, first 2 shown]
	v_mad_i32_i24 v61, v48, -12, v60
	v_mad_u32_u24 v62, v48, 12, v61
	v_and_b32_e32 v1, 31, v49
	v_mad_i32_i24 v63, v48, -12, v62
	v_mov_b32_e32 v24, 0
	v_lshlrev_b32_e32 v2, 2, v1
	v_and_b32_e32 v1, 1, v48
	v_mad_u32_u24 v64, v48, 12, v63
	v_mul_f32_e64 v50, s18, s18
	v_cmp_gt_u32_e32 vcc, v45, v48
	v_lshrrev_b32_e32 v0, 5, v49
	v_mov_b32_e32 v3, v24
	s_lshl_b32 s51, s4, 3
	v_cmp_eq_u32_e64 s[0:1], 0, v1
	v_and_b32_e32 v1, 2, v48
	v_mad_i32_i24 v65, v48, -12, v64
	s_ashr_i32 s27, s6, 31
	s_mov_b32 s26, s6
	v_mul_f32_e32 v51, s18, v50
	s_or_b64 s[18:19], vcc, s[12:13]
	s_waitcnt lgkmcnt(0)
	v_lshl_add_u64 v[32:33], s[2:3], 0, v[2:3]
	v_cmp_eq_u32_e64 s[2:3], 0, v1
	v_lshlrev_b32_e32 v2, 2, v48
	v_mul_i32_i24_e32 v1, -12, v48
	s_or_b32 s52, s51, 1
	s_or_b32 s53, s51, 2
	;; [unrolled: 1-line block ×7, first 2 shown]
	v_mad_u32_u24 v66, v48, 12, v65
	s_lshl_b64 s[26:27], s[26:27], 5
	v_mov_b32_e32 v25, v24
	v_lshlrev_b32_e32 v36, 3, v0
	v_mbcnt_lo_u32_b32 v0, -1, 0
	v_lshl_add_u64 v[34:35], s[10:11], 0, v[2:3]
	s_add_u32 s26, s24, s26
	v_mov_b32_e32 v26, v24
	v_mov_b32_e32 v27, v24
	v_mov_b32_e32 v28, v24
	v_mov_b32_e32 v29, v24
	v_mov_b32_e32 v30, v24
	v_mov_b32_e32 v31, v24
	s_mov_b32 s28, 1.0
	s_mov_b32 s30, 0x3ded3cb2
	s_mov_b32 s34, 0x3f01e2bc
	v_add_u32_e32 v69, v66, v1
	v_mbcnt_hi_u32_b32 v70, -1, v0
	v_mov_b64_e32 v[0:1], v[24:25]
	v_mov_b64_e32 v[8:9], v[24:25]
	;; [unrolled: 1-line block ×3, first 2 shown]
	v_cmp_gt_u32_e64 s[4:5], 3, v48
	s_addc_u32 s27, s25, s27
	s_mov_b32 s29, 0xbf409397
	v_mov_b32_e32 v67, 0xb85ffb93
	v_mov_b32_e32 v68, 0x3a83ca0c
	;; [unrolled: 1-line block ×3, first 2 shown]
	s_mov_b32 s31, 0xbc9ded90
	v_mov_b32_e32 v40, 0x3c739487
	s_mov_b32 s35, 0x3d8eaf3b
	s_mov_b32 s36, s6
	v_mov_b64_e32 v[2:3], v[26:27]
	v_mov_b64_e32 v[4:5], v[28:29]
	;; [unrolled: 1-line block ×9, first 2 shown]
	s_branch .LBB0_3
.LBB0_2:                                ;   in Loop: Header=BB0_3 Depth=1
	s_or_b64 exec, exec, s[38:39]
	s_add_i32 s36, s36, 1
	s_add_u32 s26, s26, 32
	s_addc_u32 s27, s27, 0
	s_cmp_ge_i32 s36, s7
	s_cbranch_scc1 .LBB0_43
.LBB0_3:                                ; =>This Loop Header: Depth=1
                                        ;     Child Loop BB0_7 Depth 2
	s_ashr_i32 s37, s36, 31
	s_lshl_b64 s[38:39], s[36:37], 5
	s_add_u32 s40, s24, s38
	s_addc_u32 s41, s25, s39
	global_load_dword v71, v36, s[40:41] offset:16
	s_waitcnt vmcnt(0)
	v_cmp_ne_u32_e32 vcc, 0, v71
	s_and_saveexec_b64 s[38:39], vcc
	s_cbranch_execz .LBB0_2
; %bb.4:                                ;   in Loop: Header=BB0_3 Depth=1
	v_mov_b32_e32 v37, v24
	s_waitcnt lgkmcnt(0)
	v_lshl_add_u64 v[26:27], s[40:41], 0, v[36:37]
	global_load_dword v26, v[26:27], off offset:20
	s_mov_b32 s6, 0
	s_mov_b64 s[40:41], s[26:27]
	s_waitcnt vmcnt(0)
	v_ashrrev_i32_e32 v27, 31, v26
	v_lshlrev_b64 v[26:27], 7, v[26:27]
	v_lshl_add_u64 v[26:27], v[32:33], 0, v[26:27]
	global_load_dword v37, v[26:27], off
	s_branch .LBB0_7
.LBB0_5:                                ;   in Loop: Header=BB0_7 Depth=2
	s_or_b64 exec, exec, s[44:45]
.LBB0_6:                                ;   in Loop: Header=BB0_7 Depth=2
	s_or_b64 exec, exec, s[42:43]
	s_add_i32 s6, s6, 8
	s_add_u32 s40, s40, 4
	s_addc_u32 s41, s41, 0
	s_cmp_lg_u32 s6, 32
	s_cbranch_scc0 .LBB0_2
.LBB0_7:                                ;   Parent Loop BB0_3 Depth=1
                                        ; =>  This Inner Loop Header: Depth=2
	v_bfe_u32 v25, v71, s6, 8
	v_cmp_ne_u32_e32 vcc, 0, v25
	s_and_saveexec_b64 s[42:43], vcc
	s_cbranch_execz .LBB0_6
; %bb.8:                                ;   in Loop: Header=BB0_7 Depth=2
	s_load_dword s37, s[40:41], 0x0
	s_lshl_b32 s59, 1, s6
	v_and_b32_e32 v25, s59, v71
	v_cmp_ne_u32_e32 vcc, 0, v25
	v_mov_b32_e32 v25, v24
	s_waitcnt lgkmcnt(0)
	v_lshl_add_u32 v30, s37, 3, v45
	v_ashrrev_i32_e32 v31, 31, v30
	v_lshl_add_u64 v[26:27], v[30:31], 4, s[8:9]
	v_lshl_add_u64 v[42:43], v[30:31], 2, s[20:21]
	global_load_dwordx4 v[26:29], v[26:27], off
	s_nop 0
	global_load_dword v44, v[42:43], off
	v_mov_b32_e32 v31, 0
	v_mov_b64_e32 v[42:43], v[24:25]
	s_and_saveexec_b64 s[44:45], vcc
	s_cbranch_execz .LBB0_12
; %bb.9:                                ;   in Loop: Header=BB0_7 Depth=2
	ds_read_b96 v[72:74], v52
	s_cmp_lg_u32 s51, s37
	s_cselect_b64 s[46:47], -1, 0
	s_or_b64 s[46:47], s[18:19], s[46:47]
	v_mov_b32_e32 v25, v24
	s_waitcnt vmcnt(1) lgkmcnt(0)
	v_pk_add_f32 v[46:47], v[72:73], v[26:27] neg_lo:[0,1] neg_hi:[0,1]
	v_sub_f32_e32 v72, v74, v28
	v_pk_mul_f32 v[42:43], v[46:47], v[46:47]
	v_mov_b32_e32 v31, 0
	v_add_f32_e32 v39, v42, v43
	v_fmac_f32_e32 v39, v72, v72
	v_cmp_gt_f32_e32 vcc, s17, v39
	s_and_b64 s[60:61], vcc, s[46:47]
	v_mov_b64_e32 v[42:43], v[24:25]
	s_and_saveexec_b64 s[46:47], s[60:61]
	s_cbranch_execz .LBB0_11
; %bb.10:                               ;   in Loop: Header=BB0_7 Depth=2
	ds_read_b32 v25, v53 offset:1792
	ds_read_b32 v74, v52 offset:12
	v_max_f32_e32 v31, v39, v39
	v_mov_b32_e32 v76, v29
	s_waitcnt vmcnt(0) lgkmcnt(1)
	v_mad_u64_u32 v[42:43], s[60:61], v25, s16, v[44:45]
	v_ashrrev_i32_e32 v43, 31, v42
	v_lshl_add_u64 v[42:43], v[42:43], 3, s[22:23]
	global_load_dwordx2 v[42:43], v[42:43], off
	v_and_b32_e32 v25, s59, v37
	v_cmp_eq_u32_e32 vcc, 0, v25
	v_max_f32_e32 v25, 0x34cd15ae, v31
	v_mul_f32_e32 v80, v50, v25
	v_mul_f32_e32 v82, v80, v80
	v_fmamk_f32 v39, v82, 0xb2951928, v67
	v_fmamk_f32 v41, v82, 0x35c55945, v68
	v_pk_fma_f32 v[84:85], v[82:83], v[38:39], s[30:31] op_sel_hi:[0,1,1]
	v_pk_fma_f32 v[86:87], v[82:83], v[40:41], s[34:35] op_sel_hi:[0,1,1]
	;; [unrolled: 1-line block ×4, first 2 shown]
	v_rsq_f32_e32 v77, v25
	v_div_scale_f32 v25, s[60:61], v80, v80, 1.0
	v_rcp_f32_e32 v39, v25
	v_cndmask_b32_e64 v78, 1.0, 0, vcc
	v_div_scale_f32 v31, vcc, 1.0, v80, 1.0
	v_fma_f32 v41, -v25, v39, 1.0
	v_fmac_f32_e32 v39, v41, v39
	v_mul_f32_e32 v41, v31, v39
	v_mov_b32_e32 v75, v77
	v_fma_f32 v73, -v25, v41, v31
	s_waitcnt lgkmcnt(0)
	v_pk_mul_f32 v[74:75], v[76:77], v[74:75]
	v_fmac_f32_e32 v41, v73, v39
	v_pk_mul_f32 v[82:83], v[74:75], v[74:75]
	v_fma_f32 v25, -v25, v41, v31
	v_mov_b32_e32 v79, v83
	v_div_fmas_f32 v25, v25, v39, v41
	v_pk_mul_f32 v[82:83], v[78:79], v[74:75] op_sel:[0,1]
	v_pk_mov_b32 v[76:77], v[76:77], v[78:79] op_sel:[1,0]
	v_div_fixup_f32 v25, v25, v80, 1.0
	v_pk_mul_f32 v[78:79], v[76:77], v[82:83]
	v_mul_f32_e32 v25, v25, v81
	v_mul_f32_e32 v80, v51, v25
	s_waitcnt vmcnt(0)
	v_fma_f32 v81, v79, v43, -v42
	v_pk_fma_f32 v[42:43], v[76:77], v[82:83], v[80:81]
	v_pk_mul_f32 v[76:77], v[78:79], v[80:81]
	s_nop 0
	v_mov_b32_e32 v43, v77
	v_mul_f32_e32 v76, v77, v75
	v_pk_fma_f32 v[74:75], v[42:43], v[74:75], v[76:77] op_sel_hi:[1,1,0]
	s_nop 0
	v_pk_mul_f32 v[76:77], v[46:47], v[74:75] op_sel_hi:[1,0]
	v_pk_fma_f32 v[42:43], v[46:47], v[74:75], 0 op_sel_hi:[1,0,0] neg_lo:[1,0,0] neg_hi:[1,0,0]
	v_fma_f32 v31, -v72, v74, 0
	v_add_f32_e32 v0, v0, v76
	v_add_f32_e32 v8, v8, v77
	v_fma_f32 v16, v72, v74, v16
.LBB0_11:                               ;   in Loop: Header=BB0_7 Depth=2
	s_or_b64 exec, exec, s[46:47]
.LBB0_12:                               ;   in Loop: Header=BB0_7 Depth=2
	s_or_b64 exec, exec, s[44:45]
	s_lshl_b32 s60, s59, 1
	v_and_b32_e32 v25, s60, v71
	v_cmp_ne_u32_e32 vcc, 0, v25
	s_and_saveexec_b64 s[44:45], vcc
	s_cbranch_execz .LBB0_16
; %bb.13:                               ;   in Loop: Header=BB0_7 Depth=2
	ds_read_b96 v[72:74], v54 offset:128
	s_cmp_lg_u32 s52, s37
	s_cselect_b64 s[46:47], -1, 0
	s_or_b64 s[46:47], s[18:19], s[46:47]
	s_waitcnt vmcnt(1) lgkmcnt(0)
	v_pk_add_f32 v[46:47], v[72:73], v[26:27] neg_lo:[0,1] neg_hi:[0,1]
	s_nop 0
	v_pk_mul_f32 v[72:73], v[46:47], v[46:47]
	v_sub_f32_e32 v25, v74, v28
	v_add_f32_e32 v39, v72, v73
	v_fmac_f32_e32 v39, v25, v25
	v_cmp_gt_f32_e32 vcc, s17, v39
	s_and_b64 s[62:63], vcc, s[46:47]
	s_and_saveexec_b64 s[46:47], s[62:63]
	s_cbranch_execz .LBB0_15
; %bb.14:                               ;   in Loop: Header=BB0_7 Depth=2
	ds_read_b32 v41, v55 offset:1824
	ds_read_b32 v74, v54 offset:140
	v_max_f32_e32 v39, v39, v39
	v_max_f32_e32 v39, 0x34cd15ae, v39
	v_mul_f32_e32 v80, v50, v39
	s_waitcnt vmcnt(0) lgkmcnt(1)
	v_mad_u64_u32 v[72:73], s[62:63], v41, s16, v[44:45]
	v_ashrrev_i32_e32 v73, 31, v72
	v_lshl_add_u64 v[72:73], v[72:73], 3, s[22:23]
	global_load_dwordx2 v[72:73], v[72:73], off
	v_mul_f32_e32 v82, v80, v80
	v_and_b32_e32 v41, s60, v37
	v_rsq_f32_e32 v77, v39
	v_fmamk_f32 v39, v82, 0xb2951928, v67
	v_cmp_eq_u32_e32 vcc, 0, v41
	v_fmamk_f32 v41, v82, 0x35c55945, v68
	v_pk_fma_f32 v[84:85], v[82:83], v[38:39], s[30:31] op_sel_hi:[0,1,1]
	v_pk_fma_f32 v[86:87], v[82:83], v[40:41], s[34:35] op_sel_hi:[0,1,1]
	;; [unrolled: 1-line block ×4, first 2 shown]
	v_div_scale_f32 v39, s[60:61], v80, v80, 1.0
	v_rcp_f32_e32 v84, v39
	v_cndmask_b32_e64 v78, 1.0, 0, vcc
	v_div_scale_f32 v41, vcc, 1.0, v80, 1.0
	v_fma_f32 v85, -v39, v84, 1.0
	v_fmac_f32_e32 v84, v85, v84
	v_mul_f32_e32 v85, v41, v84
	v_mov_b32_e32 v76, v29
	v_mov_b32_e32 v75, v77
	v_fma_f32 v86, -v39, v85, v41
	s_waitcnt lgkmcnt(0)
	v_pk_mul_f32 v[74:75], v[76:77], v[74:75]
	v_fmac_f32_e32 v85, v86, v84
	v_pk_mul_f32 v[82:83], v[74:75], v[74:75]
	v_fma_f32 v39, -v39, v85, v41
	v_mov_b32_e32 v79, v83
	v_div_fmas_f32 v39, v39, v84, v85
	v_pk_mul_f32 v[82:83], v[78:79], v[74:75] op_sel:[0,1]
	v_pk_mov_b32 v[76:77], v[76:77], v[78:79] op_sel:[1,0]
	v_div_fixup_f32 v39, v39, v80, 1.0
	v_pk_mul_f32 v[78:79], v[76:77], v[82:83]
	v_mul_f32_e32 v39, v39, v81
	v_mul_f32_e32 v80, v51, v39
	s_waitcnt vmcnt(0)
	v_fma_f32 v81, v79, v73, -v72
	v_pk_fma_f32 v[72:73], v[76:77], v[82:83], v[80:81]
	v_pk_mul_f32 v[76:77], v[78:79], v[80:81]
	s_nop 0
	v_mov_b32_e32 v73, v77
	v_mul_f32_e32 v76, v77, v75
	v_pk_fma_f32 v[72:73], v[72:73], v[74:75], v[76:77] op_sel_hi:[1,1,0]
	s_nop 0
	v_pk_mul_f32 v[74:75], v[46:47], v[72:73] op_sel_hi:[1,0]
	v_pk_fma_f32 v[42:43], v[46:47], v[72:73], v[42:43] op_sel_hi:[1,0,1] neg_lo:[1,0,0] neg_hi:[1,0,0]
	v_fma_f32 v31, -v25, v72, v31
	v_add_f32_e32 v1, v1, v74
	v_add_f32_e32 v9, v9, v75
	v_fma_f32 v17, v25, v72, v17
.LBB0_15:                               ;   in Loop: Header=BB0_7 Depth=2
	s_or_b64 exec, exec, s[46:47]
.LBB0_16:                               ;   in Loop: Header=BB0_7 Depth=2
	s_or_b64 exec, exec, s[44:45]
	s_lshl_b32 s60, s59, 2
	v_and_b32_e32 v25, s60, v71
	v_cmp_ne_u32_e32 vcc, 0, v25
	s_and_saveexec_b64 s[44:45], vcc
	s_cbranch_execz .LBB0_20
; %bb.17:                               ;   in Loop: Header=BB0_7 Depth=2
	ds_read_b96 v[72:74], v56 offset:256
	s_cmp_lg_u32 s53, s37
	s_cselect_b64 s[46:47], -1, 0
	s_or_b64 s[46:47], s[18:19], s[46:47]
	s_waitcnt vmcnt(1) lgkmcnt(0)
	v_pk_add_f32 v[46:47], v[72:73], v[26:27] neg_lo:[0,1] neg_hi:[0,1]
	s_nop 0
	v_pk_mul_f32 v[72:73], v[46:47], v[46:47]
	v_sub_f32_e32 v25, v74, v28
	v_add_f32_e32 v39, v72, v73
	v_fmac_f32_e32 v39, v25, v25
	v_cmp_gt_f32_e32 vcc, s17, v39
	s_and_b64 s[62:63], vcc, s[46:47]
	s_and_saveexec_b64 s[46:47], s[62:63]
	s_cbranch_execz .LBB0_19
; %bb.18:                               ;   in Loop: Header=BB0_7 Depth=2
	ds_read_b32 v41, v57 offset:1856
	ds_read_b32 v74, v56 offset:268
	v_max_f32_e32 v39, v39, v39
	v_max_f32_e32 v39, 0x34cd15ae, v39
	v_mul_f32_e32 v80, v50, v39
	s_waitcnt vmcnt(0) lgkmcnt(1)
	v_mad_u64_u32 v[72:73], s[62:63], v41, s16, v[44:45]
	v_ashrrev_i32_e32 v73, 31, v72
	v_lshl_add_u64 v[72:73], v[72:73], 3, s[22:23]
	global_load_dwordx2 v[72:73], v[72:73], off
	v_mul_f32_e32 v82, v80, v80
	v_and_b32_e32 v41, s60, v37
	v_rsq_f32_e32 v77, v39
	v_fmamk_f32 v39, v82, 0xb2951928, v67
	v_cmp_eq_u32_e32 vcc, 0, v41
	v_fmamk_f32 v41, v82, 0x35c55945, v68
	v_pk_fma_f32 v[84:85], v[82:83], v[38:39], s[30:31] op_sel_hi:[0,1,1]
	v_pk_fma_f32 v[86:87], v[82:83], v[40:41], s[34:35] op_sel_hi:[0,1,1]
	;; [unrolled: 1-line block ×4, first 2 shown]
	v_div_scale_f32 v39, s[60:61], v80, v80, 1.0
	v_rcp_f32_e32 v84, v39
	v_cndmask_b32_e64 v78, 1.0, 0, vcc
	v_div_scale_f32 v41, vcc, 1.0, v80, 1.0
	v_fma_f32 v85, -v39, v84, 1.0
	v_fmac_f32_e32 v84, v85, v84
	v_mul_f32_e32 v85, v41, v84
	v_mov_b32_e32 v76, v29
	v_mov_b32_e32 v75, v77
	v_fma_f32 v86, -v39, v85, v41
	s_waitcnt lgkmcnt(0)
	v_pk_mul_f32 v[74:75], v[76:77], v[74:75]
	v_fmac_f32_e32 v85, v86, v84
	v_pk_mul_f32 v[82:83], v[74:75], v[74:75]
	v_fma_f32 v39, -v39, v85, v41
	v_mov_b32_e32 v79, v83
	v_div_fmas_f32 v39, v39, v84, v85
	v_pk_mul_f32 v[82:83], v[78:79], v[74:75] op_sel:[0,1]
	v_pk_mov_b32 v[76:77], v[76:77], v[78:79] op_sel:[1,0]
	v_div_fixup_f32 v39, v39, v80, 1.0
	v_pk_mul_f32 v[78:79], v[76:77], v[82:83]
	v_mul_f32_e32 v39, v39, v81
	v_mul_f32_e32 v80, v51, v39
	s_waitcnt vmcnt(0)
	v_fma_f32 v81, v79, v73, -v72
	v_pk_fma_f32 v[72:73], v[76:77], v[82:83], v[80:81]
	v_pk_mul_f32 v[76:77], v[78:79], v[80:81]
	s_nop 0
	v_mov_b32_e32 v73, v77
	v_mul_f32_e32 v76, v77, v75
	v_pk_fma_f32 v[72:73], v[72:73], v[74:75], v[76:77] op_sel_hi:[1,1,0]
	s_nop 0
	v_pk_mul_f32 v[74:75], v[46:47], v[72:73] op_sel_hi:[1,0]
	v_pk_fma_f32 v[42:43], v[46:47], v[72:73], v[42:43] op_sel_hi:[1,0,1] neg_lo:[1,0,0] neg_hi:[1,0,0]
	v_fma_f32 v31, -v25, v72, v31
	v_add_f32_e32 v2, v2, v74
	v_add_f32_e32 v10, v10, v75
	v_fma_f32 v18, v25, v72, v18
.LBB0_19:                               ;   in Loop: Header=BB0_7 Depth=2
	s_or_b64 exec, exec, s[46:47]
.LBB0_20:                               ;   in Loop: Header=BB0_7 Depth=2
	s_or_b64 exec, exec, s[44:45]
	s_lshl_b32 s60, s59, 3
	v_and_b32_e32 v25, s60, v71
	v_cmp_ne_u32_e32 vcc, 0, v25
	s_and_saveexec_b64 s[44:45], vcc
	s_cbranch_execz .LBB0_24
; %bb.21:                               ;   in Loop: Header=BB0_7 Depth=2
	ds_read_b96 v[72:74], v58 offset:384
	s_cmp_lg_u32 s54, s37
	s_cselect_b64 s[46:47], -1, 0
	s_or_b64 s[46:47], s[18:19], s[46:47]
	s_waitcnt vmcnt(1) lgkmcnt(0)
	v_pk_add_f32 v[46:47], v[72:73], v[26:27] neg_lo:[0,1] neg_hi:[0,1]
	s_nop 0
	v_pk_mul_f32 v[72:73], v[46:47], v[46:47]
	v_sub_f32_e32 v25, v74, v28
	v_add_f32_e32 v39, v72, v73
	v_fmac_f32_e32 v39, v25, v25
	v_cmp_gt_f32_e32 vcc, s17, v39
	s_and_b64 s[62:63], vcc, s[46:47]
	s_and_saveexec_b64 s[46:47], s[62:63]
	s_cbranch_execz .LBB0_23
; %bb.22:                               ;   in Loop: Header=BB0_7 Depth=2
	ds_read_b32 v41, v59 offset:1888
	ds_read_b32 v74, v58 offset:396
	v_max_f32_e32 v39, v39, v39
	v_max_f32_e32 v39, 0x34cd15ae, v39
	v_mul_f32_e32 v80, v50, v39
	s_waitcnt vmcnt(0) lgkmcnt(1)
	v_mad_u64_u32 v[72:73], s[62:63], v41, s16, v[44:45]
	v_ashrrev_i32_e32 v73, 31, v72
	v_lshl_add_u64 v[72:73], v[72:73], 3, s[22:23]
	global_load_dwordx2 v[72:73], v[72:73], off
	v_mul_f32_e32 v82, v80, v80
	v_and_b32_e32 v41, s60, v37
	v_rsq_f32_e32 v77, v39
	v_fmamk_f32 v39, v82, 0xb2951928, v67
	v_cmp_eq_u32_e32 vcc, 0, v41
	v_fmamk_f32 v41, v82, 0x35c55945, v68
	v_pk_fma_f32 v[84:85], v[82:83], v[38:39], s[30:31] op_sel_hi:[0,1,1]
	v_pk_fma_f32 v[86:87], v[82:83], v[40:41], s[34:35] op_sel_hi:[0,1,1]
	;; [unrolled: 1-line block ×4, first 2 shown]
	v_div_scale_f32 v39, s[60:61], v80, v80, 1.0
	v_rcp_f32_e32 v84, v39
	v_cndmask_b32_e64 v78, 1.0, 0, vcc
	v_div_scale_f32 v41, vcc, 1.0, v80, 1.0
	v_fma_f32 v85, -v39, v84, 1.0
	v_fmac_f32_e32 v84, v85, v84
	v_mul_f32_e32 v85, v41, v84
	v_mov_b32_e32 v76, v29
	v_mov_b32_e32 v75, v77
	v_fma_f32 v86, -v39, v85, v41
	s_waitcnt lgkmcnt(0)
	v_pk_mul_f32 v[74:75], v[76:77], v[74:75]
	v_fmac_f32_e32 v85, v86, v84
	v_pk_mul_f32 v[82:83], v[74:75], v[74:75]
	v_fma_f32 v39, -v39, v85, v41
	v_mov_b32_e32 v79, v83
	v_div_fmas_f32 v39, v39, v84, v85
	v_pk_mul_f32 v[82:83], v[78:79], v[74:75] op_sel:[0,1]
	v_pk_mov_b32 v[76:77], v[76:77], v[78:79] op_sel:[1,0]
	v_div_fixup_f32 v39, v39, v80, 1.0
	v_pk_mul_f32 v[78:79], v[76:77], v[82:83]
	v_mul_f32_e32 v39, v39, v81
	v_mul_f32_e32 v80, v51, v39
	s_waitcnt vmcnt(0)
	v_fma_f32 v81, v79, v73, -v72
	v_pk_fma_f32 v[72:73], v[76:77], v[82:83], v[80:81]
	v_pk_mul_f32 v[76:77], v[78:79], v[80:81]
	s_nop 0
	v_mov_b32_e32 v73, v77
	v_mul_f32_e32 v76, v77, v75
	v_pk_fma_f32 v[72:73], v[72:73], v[74:75], v[76:77] op_sel_hi:[1,1,0]
	s_nop 0
	v_pk_mul_f32 v[74:75], v[46:47], v[72:73] op_sel_hi:[1,0]
	v_pk_fma_f32 v[42:43], v[46:47], v[72:73], v[42:43] op_sel_hi:[1,0,1] neg_lo:[1,0,0] neg_hi:[1,0,0]
	v_fma_f32 v31, -v25, v72, v31
	v_add_f32_e32 v3, v3, v74
	v_add_f32_e32 v11, v11, v75
	v_fma_f32 v19, v25, v72, v19
.LBB0_23:                               ;   in Loop: Header=BB0_7 Depth=2
	s_or_b64 exec, exec, s[46:47]
.LBB0_24:                               ;   in Loop: Header=BB0_7 Depth=2
	s_or_b64 exec, exec, s[44:45]
	s_lshl_b32 s60, s59, 4
	v_and_b32_e32 v25, s60, v71
	v_cmp_ne_u32_e32 vcc, 0, v25
	s_and_saveexec_b64 s[44:45], vcc
	s_cbranch_execz .LBB0_28
; %bb.25:                               ;   in Loop: Header=BB0_7 Depth=2
	ds_read_b96 v[72:74], v60 offset:512
	s_cmp_lg_u32 s55, s37
	s_cselect_b64 s[46:47], -1, 0
	s_or_b64 s[46:47], s[18:19], s[46:47]
	s_waitcnt vmcnt(1) lgkmcnt(0)
	v_pk_add_f32 v[46:47], v[72:73], v[26:27] neg_lo:[0,1] neg_hi:[0,1]
	s_nop 0
	v_pk_mul_f32 v[72:73], v[46:47], v[46:47]
	v_sub_f32_e32 v25, v74, v28
	v_add_f32_e32 v39, v72, v73
	v_fmac_f32_e32 v39, v25, v25
	v_cmp_gt_f32_e32 vcc, s17, v39
	s_and_b64 s[62:63], vcc, s[46:47]
	s_and_saveexec_b64 s[46:47], s[62:63]
	s_cbranch_execz .LBB0_27
; %bb.26:                               ;   in Loop: Header=BB0_7 Depth=2
	ds_read_b32 v41, v61 offset:1920
	v_max_f32_e32 v39, v39, v39
	v_max_f32_e32 v39, 0x34cd15ae, v39
	v_mul_f32_e32 v80, v50, v39
	v_mul_f32_e32 v82, v80, v80
	s_waitcnt vmcnt(0) lgkmcnt(0)
	v_mad_u64_u32 v[72:73], s[62:63], v41, s16, v[44:45]
	v_ashrrev_i32_e32 v73, 31, v72
	v_lshl_add_u64 v[72:73], v[72:73], 3, s[22:23]
	global_load_dwordx2 v[72:73], v[72:73], off
	v_and_b32_e32 v41, s60, v37
	v_rsq_f32_e32 v77, v39
	v_fmamk_f32 v39, v82, 0xb2951928, v67
	v_cmp_eq_u32_e32 vcc, 0, v41
	v_fmamk_f32 v41, v82, 0x35c55945, v68
	v_pk_fma_f32 v[84:85], v[82:83], v[38:39], s[30:31] op_sel_hi:[0,1,1]
	v_pk_fma_f32 v[86:87], v[82:83], v[40:41], s[34:35] op_sel_hi:[0,1,1]
	v_pk_fma_f32 v[82:83], v[82:83], v[84:85], s[28:29] op_sel_hi:[0,1,1]
	v_pk_fma_f32 v[80:81], v[80:81], v[86:87], v[82:83] op_sel_hi:[0,1,1]
	v_div_scale_f32 v39, s[60:61], v80, v80, 1.0
	v_rcp_f32_e32 v84, v39
	ds_read_b32 v74, v60 offset:524
	v_cndmask_b32_e64 v78, 1.0, 0, vcc
	v_div_scale_f32 v41, vcc, 1.0, v80, 1.0
	v_fma_f32 v85, -v39, v84, 1.0
	v_fmac_f32_e32 v84, v85, v84
	v_mul_f32_e32 v85, v41, v84
	v_mov_b32_e32 v76, v29
	v_mov_b32_e32 v75, v77
	v_fma_f32 v86, -v39, v85, v41
	s_waitcnt lgkmcnt(0)
	v_pk_mul_f32 v[74:75], v[76:77], v[74:75]
	v_fmac_f32_e32 v85, v86, v84
	v_pk_mul_f32 v[82:83], v[74:75], v[74:75]
	v_fma_f32 v39, -v39, v85, v41
	v_mov_b32_e32 v79, v83
	v_div_fmas_f32 v39, v39, v84, v85
	v_pk_mul_f32 v[82:83], v[78:79], v[74:75] op_sel:[0,1]
	v_pk_mov_b32 v[76:77], v[76:77], v[78:79] op_sel:[1,0]
	v_div_fixup_f32 v39, v39, v80, 1.0
	v_pk_mul_f32 v[78:79], v[76:77], v[82:83]
	v_mul_f32_e32 v39, v39, v81
	v_mul_f32_e32 v80, v51, v39
	s_waitcnt vmcnt(0)
	v_fma_f32 v81, v79, v73, -v72
	v_pk_fma_f32 v[72:73], v[76:77], v[82:83], v[80:81]
	v_pk_mul_f32 v[76:77], v[78:79], v[80:81]
	s_nop 0
	v_mov_b32_e32 v73, v77
	v_mul_f32_e32 v76, v77, v75
	v_pk_fma_f32 v[72:73], v[72:73], v[74:75], v[76:77] op_sel_hi:[1,1,0]
	s_nop 0
	v_pk_mul_f32 v[74:75], v[46:47], v[72:73] op_sel_hi:[1,0]
	v_pk_fma_f32 v[42:43], v[46:47], v[72:73], v[42:43] op_sel_hi:[1,0,1] neg_lo:[1,0,0] neg_hi:[1,0,0]
	v_fma_f32 v31, -v25, v72, v31
	v_add_f32_e32 v4, v4, v74
	v_add_f32_e32 v12, v12, v75
	v_fma_f32 v20, v25, v72, v20
.LBB0_27:                               ;   in Loop: Header=BB0_7 Depth=2
	s_or_b64 exec, exec, s[46:47]
.LBB0_28:                               ;   in Loop: Header=BB0_7 Depth=2
	s_or_b64 exec, exec, s[44:45]
	s_lshl_b32 s60, s59, 5
	v_and_b32_e32 v25, s60, v71
	v_cmp_ne_u32_e32 vcc, 0, v25
	s_and_saveexec_b64 s[44:45], vcc
	s_cbranch_execz .LBB0_32
; %bb.29:                               ;   in Loop: Header=BB0_7 Depth=2
	ds_read_b96 v[72:74], v62 offset:640
	s_cmp_lg_u32 s56, s37
	s_cselect_b64 s[46:47], -1, 0
	s_or_b64 s[46:47], s[18:19], s[46:47]
	s_waitcnt vmcnt(1) lgkmcnt(0)
	v_pk_add_f32 v[46:47], v[72:73], v[26:27] neg_lo:[0,1] neg_hi:[0,1]
	s_nop 0
	v_pk_mul_f32 v[72:73], v[46:47], v[46:47]
	v_sub_f32_e32 v25, v74, v28
	v_add_f32_e32 v39, v72, v73
	v_fmac_f32_e32 v39, v25, v25
	v_cmp_gt_f32_e32 vcc, s17, v39
	s_and_b64 s[62:63], vcc, s[46:47]
	s_and_saveexec_b64 s[46:47], s[62:63]
	s_cbranch_execz .LBB0_31
; %bb.30:                               ;   in Loop: Header=BB0_7 Depth=2
	ds_read_b32 v41, v63 offset:1952
	v_max_f32_e32 v39, v39, v39
	v_max_f32_e32 v39, 0x34cd15ae, v39
	v_mul_f32_e32 v80, v50, v39
	v_mul_f32_e32 v82, v80, v80
	s_waitcnt vmcnt(0) lgkmcnt(0)
	v_mad_u64_u32 v[72:73], s[62:63], v41, s16, v[44:45]
	v_ashrrev_i32_e32 v73, 31, v72
	v_lshl_add_u64 v[72:73], v[72:73], 3, s[22:23]
	global_load_dwordx2 v[72:73], v[72:73], off
	v_and_b32_e32 v41, s60, v37
	v_rsq_f32_e32 v77, v39
	v_fmamk_f32 v39, v82, 0xb2951928, v67
	v_cmp_eq_u32_e32 vcc, 0, v41
	v_fmamk_f32 v41, v82, 0x35c55945, v68
	v_pk_fma_f32 v[84:85], v[82:83], v[38:39], s[30:31] op_sel_hi:[0,1,1]
	v_pk_fma_f32 v[86:87], v[82:83], v[40:41], s[34:35] op_sel_hi:[0,1,1]
	;; [unrolled: 1-line block ×4, first 2 shown]
	v_div_scale_f32 v39, s[60:61], v80, v80, 1.0
	v_rcp_f32_e32 v84, v39
	ds_read_b32 v74, v62 offset:652
	v_cndmask_b32_e64 v78, 1.0, 0, vcc
	v_div_scale_f32 v41, vcc, 1.0, v80, 1.0
	v_fma_f32 v85, -v39, v84, 1.0
	v_fmac_f32_e32 v84, v85, v84
	v_mul_f32_e32 v85, v41, v84
	v_mov_b32_e32 v76, v29
	v_mov_b32_e32 v75, v77
	v_fma_f32 v86, -v39, v85, v41
	s_waitcnt lgkmcnt(0)
	v_pk_mul_f32 v[74:75], v[76:77], v[74:75]
	v_fmac_f32_e32 v85, v86, v84
	v_pk_mul_f32 v[82:83], v[74:75], v[74:75]
	v_fma_f32 v39, -v39, v85, v41
	v_mov_b32_e32 v79, v83
	v_div_fmas_f32 v39, v39, v84, v85
	v_pk_mul_f32 v[82:83], v[78:79], v[74:75] op_sel:[0,1]
	v_pk_mov_b32 v[76:77], v[76:77], v[78:79] op_sel:[1,0]
	v_div_fixup_f32 v39, v39, v80, 1.0
	v_pk_mul_f32 v[78:79], v[76:77], v[82:83]
	v_mul_f32_e32 v39, v39, v81
	v_mul_f32_e32 v80, v51, v39
	s_waitcnt vmcnt(0)
	v_fma_f32 v81, v79, v73, -v72
	v_pk_fma_f32 v[72:73], v[76:77], v[82:83], v[80:81]
	v_pk_mul_f32 v[76:77], v[78:79], v[80:81]
	s_nop 0
	v_mov_b32_e32 v73, v77
	v_mul_f32_e32 v76, v77, v75
	v_pk_fma_f32 v[72:73], v[72:73], v[74:75], v[76:77] op_sel_hi:[1,1,0]
	s_nop 0
	v_pk_mul_f32 v[74:75], v[46:47], v[72:73] op_sel_hi:[1,0]
	v_pk_fma_f32 v[42:43], v[46:47], v[72:73], v[42:43] op_sel_hi:[1,0,1] neg_lo:[1,0,0] neg_hi:[1,0,0]
	v_fma_f32 v31, -v25, v72, v31
	v_add_f32_e32 v5, v5, v74
	v_add_f32_e32 v13, v13, v75
	v_fma_f32 v21, v25, v72, v21
.LBB0_31:                               ;   in Loop: Header=BB0_7 Depth=2
	s_or_b64 exec, exec, s[46:47]
.LBB0_32:                               ;   in Loop: Header=BB0_7 Depth=2
	s_or_b64 exec, exec, s[44:45]
	s_lshl_b32 s60, s59, 6
	v_and_b32_e32 v25, s60, v71
	v_cmp_ne_u32_e32 vcc, 0, v25
	s_and_saveexec_b64 s[44:45], vcc
	s_cbranch_execz .LBB0_36
; %bb.33:                               ;   in Loop: Header=BB0_7 Depth=2
	ds_read_b96 v[72:74], v64 offset:768
	s_cmp_lg_u32 s57, s37
	s_cselect_b64 s[46:47], -1, 0
	s_or_b64 s[46:47], s[18:19], s[46:47]
	s_waitcnt vmcnt(1) lgkmcnt(0)
	v_pk_add_f32 v[46:47], v[72:73], v[26:27] neg_lo:[0,1] neg_hi:[0,1]
	s_nop 0
	v_pk_mul_f32 v[72:73], v[46:47], v[46:47]
	v_sub_f32_e32 v25, v74, v28
	v_add_f32_e32 v39, v72, v73
	v_fmac_f32_e32 v39, v25, v25
	v_cmp_gt_f32_e32 vcc, s17, v39
	s_and_b64 s[62:63], vcc, s[46:47]
	s_and_saveexec_b64 s[46:47], s[62:63]
	s_cbranch_execz .LBB0_35
; %bb.34:                               ;   in Loop: Header=BB0_7 Depth=2
	ds_read_b32 v41, v65 offset:1984
	v_max_f32_e32 v39, v39, v39
	v_max_f32_e32 v39, 0x34cd15ae, v39
	v_mul_f32_e32 v80, v50, v39
	v_mul_f32_e32 v82, v80, v80
	s_waitcnt vmcnt(0) lgkmcnt(0)
	v_mad_u64_u32 v[72:73], s[62:63], v41, s16, v[44:45]
	v_ashrrev_i32_e32 v73, 31, v72
	v_lshl_add_u64 v[72:73], v[72:73], 3, s[22:23]
	global_load_dwordx2 v[72:73], v[72:73], off
	v_and_b32_e32 v41, s60, v37
	v_rsq_f32_e32 v77, v39
	v_fmamk_f32 v39, v82, 0xb2951928, v67
	v_cmp_eq_u32_e32 vcc, 0, v41
	v_fmamk_f32 v41, v82, 0x35c55945, v68
	v_pk_fma_f32 v[84:85], v[82:83], v[38:39], s[30:31] op_sel_hi:[0,1,1]
	v_pk_fma_f32 v[86:87], v[82:83], v[40:41], s[34:35] op_sel_hi:[0,1,1]
	;; [unrolled: 1-line block ×4, first 2 shown]
	v_div_scale_f32 v39, s[60:61], v80, v80, 1.0
	v_rcp_f32_e32 v84, v39
	ds_read_b32 v74, v64 offset:780
	v_cndmask_b32_e64 v78, 1.0, 0, vcc
	v_div_scale_f32 v41, vcc, 1.0, v80, 1.0
	v_fma_f32 v85, -v39, v84, 1.0
	v_fmac_f32_e32 v84, v85, v84
	v_mul_f32_e32 v85, v41, v84
	v_mov_b32_e32 v76, v29
	v_mov_b32_e32 v75, v77
	v_fma_f32 v86, -v39, v85, v41
	s_waitcnt lgkmcnt(0)
	v_pk_mul_f32 v[74:75], v[76:77], v[74:75]
	v_fmac_f32_e32 v85, v86, v84
	v_pk_mul_f32 v[82:83], v[74:75], v[74:75]
	v_fma_f32 v39, -v39, v85, v41
	v_mov_b32_e32 v79, v83
	v_div_fmas_f32 v39, v39, v84, v85
	v_pk_mul_f32 v[82:83], v[78:79], v[74:75] op_sel:[0,1]
	v_pk_mov_b32 v[76:77], v[76:77], v[78:79] op_sel:[1,0]
	v_div_fixup_f32 v39, v39, v80, 1.0
	v_pk_mul_f32 v[78:79], v[76:77], v[82:83]
	v_mul_f32_e32 v39, v39, v81
	v_mul_f32_e32 v80, v51, v39
	s_waitcnt vmcnt(0)
	v_fma_f32 v81, v79, v73, -v72
	v_pk_fma_f32 v[72:73], v[76:77], v[82:83], v[80:81]
	v_pk_mul_f32 v[76:77], v[78:79], v[80:81]
	s_nop 0
	v_mov_b32_e32 v73, v77
	v_mul_f32_e32 v76, v77, v75
	v_pk_fma_f32 v[72:73], v[72:73], v[74:75], v[76:77] op_sel_hi:[1,1,0]
	s_nop 0
	v_pk_mul_f32 v[74:75], v[46:47], v[72:73] op_sel_hi:[1,0]
	v_pk_fma_f32 v[42:43], v[46:47], v[72:73], v[42:43] op_sel_hi:[1,0,1] neg_lo:[1,0,0] neg_hi:[1,0,0]
	v_fma_f32 v31, -v25, v72, v31
	v_add_f32_e32 v6, v6, v74
	v_add_f32_e32 v14, v14, v75
	v_fma_f32 v22, v25, v72, v22
.LBB0_35:                               ;   in Loop: Header=BB0_7 Depth=2
	s_or_b64 exec, exec, s[46:47]
.LBB0_36:                               ;   in Loop: Header=BB0_7 Depth=2
	s_or_b64 exec, exec, s[44:45]
	s_lshl_b32 s59, s59, 7
	v_and_b32_e32 v25, s59, v71
	v_cmp_ne_u32_e32 vcc, 0, v25
	s_and_saveexec_b64 s[44:45], vcc
	s_cbranch_execz .LBB0_40
; %bb.37:                               ;   in Loop: Header=BB0_7 Depth=2
	ds_read_b96 v[72:74], v66 offset:896
	s_cmp_lg_u32 s58, s37
	s_cselect_b64 s[46:47], -1, 0
	s_or_b64 s[46:47], s[18:19], s[46:47]
	s_waitcnt vmcnt(1) lgkmcnt(0)
	v_pk_add_f32 v[26:27], v[72:73], v[26:27] neg_lo:[0,1] neg_hi:[0,1]
	s_nop 0
	v_pk_mul_f32 v[46:47], v[26:27], v[26:27]
	v_sub_f32_e32 v25, v74, v28
	v_add_f32_e32 v28, v46, v47
	v_fmac_f32_e32 v28, v25, v25
	v_cmp_gt_f32_e32 vcc, s17, v28
	s_and_b64 s[60:61], vcc, s[46:47]
	s_and_saveexec_b64 s[46:47], s[60:61]
	s_cbranch_execz .LBB0_39
; %bb.38:                               ;   in Loop: Header=BB0_7 Depth=2
	ds_read_b32 v39, v69 offset:2016
	v_max_f32_e32 v41, v28, v28
	v_mov_b32_e32 v28, v29
	ds_read_b32 v72, v66 offset:908
	s_waitcnt vmcnt(0) lgkmcnt(1)
	v_mad_u64_u32 v[46:47], s[60:61], v39, s16, v[44:45]
	v_ashrrev_i32_e32 v47, 31, v46
	v_lshl_add_u64 v[46:47], v[46:47], 3, s[22:23]
	global_load_dwordx2 v[46:47], v[46:47], off
	v_and_b32_e32 v39, s59, v37
	v_cmp_eq_u32_e32 vcc, 0, v39
	v_max_f32_e32 v39, 0x34cd15ae, v41
	v_mul_f32_e32 v44, v50, v39
	v_mul_f32_e32 v76, v44, v44
	v_rsq_f32_e32 v29, v39
	v_fmamk_f32 v39, v76, 0xb2951928, v67
	v_fmamk_f32 v41, v76, 0x35c55945, v68
	v_pk_fma_f32 v[78:79], v[76:77], v[38:39], s[30:31] op_sel_hi:[0,1,1]
	v_pk_fma_f32 v[80:81], v[76:77], v[40:41], s[34:35] op_sel_hi:[0,1,1]
	;; [unrolled: 1-line block ×4, first 2 shown]
	v_div_scale_f32 v39, s[60:61], v76, v76, 1.0
	v_rcp_f32_e32 v44, v39
	v_cndmask_b32_e64 v74, 1.0, 0, vcc
	v_div_scale_f32 v41, vcc, 1.0, v76, 1.0
	v_fma_f32 v80, -v39, v44, 1.0
	v_fmac_f32_e32 v44, v80, v44
	v_mul_f32_e32 v80, v41, v44
	v_mov_b32_e32 v73, v29
	v_fma_f32 v81, -v39, v80, v41
	s_waitcnt lgkmcnt(0)
	v_pk_mul_f32 v[72:73], v[28:29], v[72:73]
	v_fmac_f32_e32 v80, v81, v44
	v_pk_mul_f32 v[78:79], v[72:73], v[72:73]
	v_fma_f32 v39, -v39, v80, v41
	v_mov_b32_e32 v75, v79
	v_div_fmas_f32 v39, v39, v44, v80
	v_pk_mul_f32 v[78:79], v[74:75], v[72:73] op_sel:[0,1]
	v_pk_mov_b32 v[28:29], v[28:29], v[74:75] op_sel:[1,0]
	v_div_fixup_f32 v39, v39, v76, 1.0
	v_pk_mul_f32 v[74:75], v[28:29], v[78:79]
	v_mul_f32_e32 v39, v39, v77
	v_mul_f32_e32 v76, v51, v39
	s_waitcnt vmcnt(0)
	v_fma_f32 v77, v75, v47, -v46
	v_pk_fma_f32 v[28:29], v[28:29], v[78:79], v[76:77]
	v_pk_mul_f32 v[46:47], v[74:75], v[76:77]
	s_nop 0
	v_mov_b32_e32 v29, v47
	v_mul_f32_e32 v44, v47, v73
	v_pk_fma_f32 v[28:29], v[28:29], v[72:73], v[44:45] op_sel_hi:[1,1,0]
	s_nop 0
	v_pk_mul_f32 v[46:47], v[26:27], v[28:29] op_sel_hi:[1,0]
	v_pk_fma_f32 v[42:43], v[26:27], v[28:29], v[42:43] op_sel_hi:[1,0,1] neg_lo:[1,0,0] neg_hi:[1,0,0]
	v_fma_f32 v31, -v25, v28, v31
	v_add_f32_e32 v7, v7, v46
	v_add_f32_e32 v15, v15, v47
	v_fma_f32 v23, v25, v28, v23
.LBB0_39:                               ;   in Loop: Header=BB0_7 Depth=2
	s_or_b64 exec, exec, s[46:47]
.LBB0_40:                               ;   in Loop: Header=BB0_7 Depth=2
	s_or_b64 exec, exec, s[44:45]
	s_waitcnt vmcnt(1)
	v_and_b32_e32 v26, 63, v70
	v_cmp_ne_u32_e32 vcc, 63, v26
	v_add_u32_e32 v28, -1, v70
	v_and_b32_e32 v29, 64, v70
	v_addc_co_u32_e32 v25, vcc, 0, v70, vcc
	v_cmp_lt_i32_e32 vcc, v28, v29
	v_lshlrev_b32_e32 v25, 2, v25
	ds_bpermute_b32 v27, v25, v42
	v_cndmask_b32_e32 v28, v28, v70, vcc
	v_lshlrev_b32_e32 v28, 2, v28
	ds_bpermute_b32 v28, v28, v43
	ds_bpermute_b32 v25, v25, v31
	s_waitcnt lgkmcnt(2)
	v_add_f32_e32 v27, v42, v27
	v_cmp_gt_u32_e32 vcc, 62, v26
	s_waitcnt lgkmcnt(1)
	v_add_f32_e32 v28, v43, v28
	s_waitcnt lgkmcnt(0)
	v_add_f32_e32 v25, v31, v25
	v_add_u32_e32 v31, -2, v70
	v_cndmask_b32_e64 v27, v28, v27, s[0:1]
	v_cndmask_b32_e64 v28, 0, 2, vcc
	v_cmp_lt_i32_e32 vcc, v31, v29
	v_add_lshl_u32 v28, v28, v70, 2
	ds_bpermute_b32 v28, v28, v27
	v_cndmask_b32_e32 v29, v31, v70, vcc
	v_lshlrev_b32_e32 v29, 2, v29
	ds_bpermute_b32 v29, v29, v25
	v_cmp_gt_u32_e32 vcc, 60, v26
	s_waitcnt lgkmcnt(1)
	v_add_f32_e32 v27, v27, v28
	s_waitcnt lgkmcnt(0)
	v_add_f32_e32 v25, v25, v29
	v_cndmask_b32_e64 v26, 0, 4, vcc
	v_cndmask_b32_e64 v25, v25, v27, s[2:3]
	v_add_lshl_u32 v26, v26, v70, 2
	ds_bpermute_b32 v26, v26, v25
	s_and_saveexec_b64 s[44:45], s[4:5]
	s_cbranch_execz .LBB0_5
; %bb.41:                               ;   in Loop: Header=BB0_7 Depth=2
	v_mad_i64_i32 v[28:29], s[46:47], v30, 12, v[34:35]
	s_waitcnt lgkmcnt(0)
	v_add_f32_e32 v25, v25, v26
	global_atomic_add_f32 v[28:29], v25, off
	s_branch .LBB0_5
.LBB0_42:
	v_mov_b32_e32 v0, 0
	v_mov_b32_e32 v6, v0
	v_mov_b32_e32 v7, v0
	v_mov_b32_e32 v1, v0
	v_mov_b32_e32 v2, v0
	v_mov_b32_e32 v3, v0
	v_mov_b32_e32 v4, v0
	v_mov_b32_e32 v5, v0
	v_mov_b64_e32 v[14:15], v[6:7]
	v_mov_b64_e32 v[22:23], v[6:7]
	;; [unrolled: 1-line block ×8, first 2 shown]
.LBB0_43:
	v_lshlrev_b32_e32 v28, 2, v49
	v_cmp_gt_u32_e64 s[2:3], 4, v45
	ds_write2st64_b32 v28, v0, v8 offset0:4 offset1:5
	ds_write_b32 v28, v16 offset:1536
	s_waitcnt lgkmcnt(0)
	s_barrier
	s_and_saveexec_b64 s[0:1], s[2:3]
	s_cbranch_execz .LBB0_45
; %bb.44:
	v_add_u32_e32 v0, 0x400, v28
	ds_read2_b32 v[24:25], v0 offset1:32
	ds_read2_b32 v[26:27], v0 offset0:64 offset1:96
	ds_read2_b32 v[30:31], v0 offset0:128 offset1:160
	s_waitcnt lgkmcnt(2)
	v_add_f32_e32 v0, v25, v24
	s_waitcnt lgkmcnt(1)
	v_add_f32_e32 v8, v27, v26
	;; [unrolled: 2-line block ×3, first 2 shown]
	ds_write2st64_b32 v28, v0, v8 offset0:4 offset1:5
	ds_write_b32 v28, v16 offset:1536
.LBB0_45:
	s_or_b64 exec, exec, s[0:1]
	v_cmp_gt_u32_e64 s[4:5], 2, v45
	s_waitcnt lgkmcnt(0)
	s_barrier
	s_and_saveexec_b64 s[0:1], s[4:5]
	s_cbranch_execz .LBB0_47
; %bb.46:
	v_add_u32_e32 v0, 0x400, v28
	ds_read2_b32 v[24:25], v0 offset1:16
	ds_read2_b32 v[26:27], v0 offset0:64 offset1:80
	ds_read2_b32 v[30:31], v0 offset0:128 offset1:144
	s_waitcnt lgkmcnt(2)
	v_add_f32_e32 v0, v25, v24
	s_waitcnt lgkmcnt(1)
	v_add_f32_e32 v8, v27, v26
	;; [unrolled: 2-line block ×3, first 2 shown]
	ds_write2st64_b32 v28, v0, v8 offset0:4 offset1:5
	ds_write_b32 v28, v16 offset:1536
.LBB0_47:
	s_or_b64 exec, exec, s[0:1]
	s_bitcmp1_b32 s50, 0
	s_cselect_b64 s[0:1], -1, 0
	v_lshlrev_b32_e32 v8, 8, v45
	v_mov_b32_e32 v25, 0
	v_lshlrev_b32_e32 v24, 2, v45
	s_and_b64 vcc, s[0:1], s[12:13]
	v_add_u32_e32 v0, s49, v48
	v_cmp_gt_u32_e64 s[0:1], 3, v45
	v_lshl_add_u32 v8, v48, 2, v8
	v_lshl_add_u64 v[26:27], s[10:11], 0, v[24:25]
	s_waitcnt lgkmcnt(0)
	s_barrier
	s_and_saveexec_b64 s[6:7], s[0:1]
	s_cbranch_execz .LBB0_49
; %bb.48:
	v_add_u32_e32 v16, 0x400, v8
	ds_read2_b32 v[30:31], v16 offset1:8
	s_waitcnt lgkmcnt(0)
	v_add_f32_e32 v16, v30, v31
	v_mad_i64_i32 v[30:31], s[8:9], v0, 12, v[26:27]
	global_atomic_add_f32 v[30:31], v16, off
	v_add_f32_e32 v16, 0, v16
	v_cndmask_b32_e32 v25, 0, v16, vcc
.LBB0_49:
	s_or_b64 exec, exec, s[6:7]
	s_barrier
	ds_write2st64_b32 v28, v1, v9 offset0:4 offset1:5
	ds_write_b32 v28, v17 offset:1536
	s_waitcnt lgkmcnt(0)
	s_barrier
	s_and_saveexec_b64 s[6:7], s[2:3]
	s_cbranch_execz .LBB0_51
; %bb.50:
	v_add_u32_e32 v1, 0x400, v28
	ds_read2_b32 v[16:17], v1 offset1:32
	ds_read2_b32 v[30:31], v1 offset0:64 offset1:96
	ds_read2_b32 v[32:33], v1 offset0:128 offset1:160
	s_waitcnt lgkmcnt(2)
	v_add_f32_e32 v1, v17, v16
	s_waitcnt lgkmcnt(1)
	v_add_f32_e32 v9, v31, v30
	s_waitcnt lgkmcnt(0)
	v_add_f32_e32 v16, v33, v32
	ds_write2st64_b32 v28, v1, v9 offset0:4 offset1:5
	ds_write_b32 v28, v16 offset:1536
.LBB0_51:
	s_or_b64 exec, exec, s[6:7]
	s_waitcnt lgkmcnt(0)
	s_barrier
	s_and_saveexec_b64 s[6:7], s[4:5]
	s_cbranch_execz .LBB0_53
; %bb.52:
	v_add_u32_e32 v1, 0x400, v28
	ds_read2_b32 v[16:17], v1 offset1:16
	ds_read2_b32 v[30:31], v1 offset0:64 offset1:80
	ds_read2_b32 v[32:33], v1 offset0:128 offset1:144
	s_waitcnt lgkmcnt(2)
	v_add_f32_e32 v1, v17, v16
	s_waitcnt lgkmcnt(1)
	v_add_f32_e32 v9, v31, v30
	s_waitcnt lgkmcnt(0)
	v_add_f32_e32 v16, v33, v32
	ds_write2st64_b32 v28, v1, v9 offset0:4 offset1:5
	ds_write_b32 v28, v16 offset:1536
.LBB0_53:
	s_or_b64 exec, exec, s[6:7]
	s_waitcnt lgkmcnt(0)
	s_barrier
	s_and_saveexec_b64 s[6:7], s[0:1]
	s_cbranch_execz .LBB0_55
; %bb.54:
	v_add_u32_e32 v1, 0x400, v8
	ds_read2_b32 v[16:17], v1 offset1:8
	v_add_u32_e32 v1, 8, v0
	s_waitcnt lgkmcnt(0)
	v_add_f32_e32 v9, v16, v17
	v_mad_i64_i32 v[16:17], s[8:9], v1, 12, v[26:27]
	global_atomic_add_f32 v[16:17], v9, off
	v_add_f32_e32 v1, v25, v9
	v_cndmask_b32_e32 v25, v25, v1, vcc
.LBB0_55:
	s_or_b64 exec, exec, s[6:7]
	s_barrier
	ds_write2st64_b32 v28, v2, v10 offset0:4 offset1:5
	ds_write_b32 v28, v18 offset:1536
	s_waitcnt lgkmcnt(0)
	s_barrier
	s_and_saveexec_b64 s[6:7], s[2:3]
	s_cbranch_execz .LBB0_57
; %bb.56:
	v_add_u32_e32 v1, 0x400, v28
	ds_read2_b32 v[16:17], v1 offset1:32
	ds_read2_b32 v[30:31], v1 offset0:64 offset1:96
	ds_read2_b32 v[32:33], v1 offset0:128 offset1:160
	s_waitcnt lgkmcnt(2)
	v_add_f32_e32 v1, v17, v16
	s_waitcnt lgkmcnt(1)
	v_add_f32_e32 v2, v31, v30
	s_waitcnt lgkmcnt(0)
	v_add_f32_e32 v9, v33, v32
	ds_write2st64_b32 v28, v1, v2 offset0:4 offset1:5
	ds_write_b32 v28, v9 offset:1536
.LBB0_57:
	s_or_b64 exec, exec, s[6:7]
	s_waitcnt lgkmcnt(0)
	s_barrier
	s_and_saveexec_b64 s[6:7], s[4:5]
	s_cbranch_execz .LBB0_59
; %bb.58:
	v_add_u32_e32 v1, 0x400, v28
	ds_read2_b32 v[16:17], v1 offset1:16
	ds_read2_b32 v[30:31], v1 offset0:64 offset1:80
	ds_read2_b32 v[32:33], v1 offset0:128 offset1:144
	s_waitcnt lgkmcnt(2)
	v_add_f32_e32 v1, v17, v16
	s_waitcnt lgkmcnt(1)
	v_add_f32_e32 v2, v31, v30
	s_waitcnt lgkmcnt(0)
	v_add_f32_e32 v9, v33, v32
	ds_write2st64_b32 v28, v1, v2 offset0:4 offset1:5
	ds_write_b32 v28, v9 offset:1536
.LBB0_59:
	s_or_b64 exec, exec, s[6:7]
	s_waitcnt lgkmcnt(0)
	s_barrier
	s_and_saveexec_b64 s[6:7], s[0:1]
	s_cbranch_execz .LBB0_61
; %bb.60:
	v_add_u32_e32 v1, 0x400, v8
	ds_read2_b32 v[16:17], v1 offset1:8
	v_add_u32_e32 v1, 16, v0
	s_waitcnt lgkmcnt(0)
	v_add_f32_e32 v2, v16, v17
	v_mad_i64_i32 v[16:17], s[8:9], v1, 12, v[26:27]
	global_atomic_add_f32 v[16:17], v2, off
	v_add_f32_e32 v1, v25, v2
	v_cndmask_b32_e32 v25, v25, v1, vcc
.LBB0_61:
	;; [unrolled: 57-line block ×6, first 2 shown]
	s_or_b64 exec, exec, s[6:7]
	s_barrier
	ds_write2st64_b32 v28, v7, v15 offset0:4 offset1:5
	ds_write_b32 v28, v23 offset:1536
	s_waitcnt lgkmcnt(0)
	s_barrier
	s_and_saveexec_b64 s[6:7], s[2:3]
	s_cbranch_execz .LBB0_87
; %bb.86:
	v_add_u32_e32 v1, 0x400, v28
	ds_read2_b32 v[2:3], v1 offset1:32
	ds_read2_b32 v[4:5], v1 offset0:64 offset1:96
	ds_read2_b32 v[6:7], v1 offset0:128 offset1:160
	s_waitcnt lgkmcnt(2)
	v_add_f32_e32 v1, v3, v2
	s_waitcnt lgkmcnt(1)
	v_add_f32_e32 v2, v5, v4
	s_waitcnt lgkmcnt(0)
	v_add_f32_e32 v3, v7, v6
	ds_write2st64_b32 v28, v1, v2 offset0:4 offset1:5
	ds_write_b32 v28, v3 offset:1536
.LBB0_87:
	s_or_b64 exec, exec, s[6:7]
	s_waitcnt lgkmcnt(0)
	s_barrier
	s_and_saveexec_b64 s[2:3], s[4:5]
	s_cbranch_execz .LBB0_89
; %bb.88:
	v_add_u32_e32 v1, 0x400, v28
	ds_read2_b32 v[2:3], v1 offset1:16
	ds_read2_b32 v[4:5], v1 offset0:64 offset1:80
	ds_read2_b32 v[6:7], v1 offset0:128 offset1:144
	s_waitcnt lgkmcnt(2)
	v_add_f32_e32 v1, v3, v2
	s_waitcnt lgkmcnt(1)
	v_add_f32_e32 v2, v5, v4
	;; [unrolled: 2-line block ×3, first 2 shown]
	ds_write2st64_b32 v28, v1, v2 offset0:4 offset1:5
	ds_write_b32 v28, v3 offset:1536
.LBB0_89:
	s_or_b64 exec, exec, s[2:3]
	s_waitcnt lgkmcnt(0)
	s_barrier
	s_and_saveexec_b64 s[2:3], s[0:1]
	s_cbranch_execz .LBB0_91
; %bb.90:
	v_add_u32_e32 v1, 0x400, v8
	ds_read2_b32 v[2:3], v1 offset1:8
	v_add_u32_e32 v0, 56, v0
	v_mad_i64_i32 v[0:1], s[4:5], v0, 12, v[26:27]
	s_waitcnt lgkmcnt(0)
	v_add_f32_e32 v2, v2, v3
	global_atomic_add_f32 v[0:1], v2, off
	v_add_f32_e32 v0, v25, v2
	v_cndmask_b32_e32 v25, v25, v0, vcc
.LBB0_91:
	s_or_b64 exec, exec, s[2:3]
	s_and_b64 s[0:1], vcc, s[0:1]
	s_barrier
	s_and_saveexec_b64 s[2:3], s[0:1]
	s_cbranch_execz .LBB0_93
; %bb.92:
	s_add_u32 s0, s14, s48
	s_addc_u32 s1, s15, s33
	global_atomic_add_f32 v24, v25, s[0:1]
.LBB0_93:
	s_endpgm
	.section	.rodata,"a",@progbits
	.p2align	6, 0x0
	.amdhsa_kernel _Z15nbnxmKernelTestPK15HIP_vector_typeIfLj4EEPN3gmx11BasicVectorIfEES6_S6_P11nbnxn_cj4_tPK9nbnxn_sciPK12nbnxn_excl_tPKiPKS_IfLj2EEifffb
		.amdhsa_group_segment_fixed_size 2048
		.amdhsa_private_segment_fixed_size 0
		.amdhsa_kernarg_size 92
		.amdhsa_user_sgpr_count 2
		.amdhsa_user_sgpr_dispatch_ptr 0
		.amdhsa_user_sgpr_queue_ptr 0
		.amdhsa_user_sgpr_kernarg_segment_ptr 1
		.amdhsa_user_sgpr_dispatch_id 0
		.amdhsa_user_sgpr_kernarg_preload_length 0
		.amdhsa_user_sgpr_kernarg_preload_offset 0
		.amdhsa_user_sgpr_private_segment_size 0
		.amdhsa_uses_dynamic_stack 0
		.amdhsa_enable_private_segment 0
		.amdhsa_system_sgpr_workgroup_id_x 1
		.amdhsa_system_sgpr_workgroup_id_y 0
		.amdhsa_system_sgpr_workgroup_id_z 1
		.amdhsa_system_sgpr_workgroup_info 0
		.amdhsa_system_vgpr_workitem_id 1
		.amdhsa_next_free_vgpr 88
		.amdhsa_next_free_sgpr 64
		.amdhsa_accum_offset 88
		.amdhsa_reserve_vcc 1
		.amdhsa_float_round_mode_32 0
		.amdhsa_float_round_mode_16_64 0
		.amdhsa_float_denorm_mode_32 3
		.amdhsa_float_denorm_mode_16_64 3
		.amdhsa_dx10_clamp 1
		.amdhsa_ieee_mode 1
		.amdhsa_fp16_overflow 0
		.amdhsa_tg_split 0
		.amdhsa_exception_fp_ieee_invalid_op 0
		.amdhsa_exception_fp_denorm_src 0
		.amdhsa_exception_fp_ieee_div_zero 0
		.amdhsa_exception_fp_ieee_overflow 0
		.amdhsa_exception_fp_ieee_underflow 0
		.amdhsa_exception_fp_ieee_inexact 0
		.amdhsa_exception_int_div_zero 0
	.end_amdhsa_kernel
	.text
.Lfunc_end0:
	.size	_Z15nbnxmKernelTestPK15HIP_vector_typeIfLj4EEPN3gmx11BasicVectorIfEES6_S6_P11nbnxn_cj4_tPK9nbnxn_sciPK12nbnxn_excl_tPKiPKS_IfLj2EEifffb, .Lfunc_end0-_Z15nbnxmKernelTestPK15HIP_vector_typeIfLj4EEPN3gmx11BasicVectorIfEES6_S6_P11nbnxn_cj4_tPK9nbnxn_sciPK12nbnxn_excl_tPKiPKS_IfLj2EEifffb
                                        ; -- End function
	.set _Z15nbnxmKernelTestPK15HIP_vector_typeIfLj4EEPN3gmx11BasicVectorIfEES6_S6_P11nbnxn_cj4_tPK9nbnxn_sciPK12nbnxn_excl_tPKiPKS_IfLj2EEifffb.num_vgpr, 88
	.set _Z15nbnxmKernelTestPK15HIP_vector_typeIfLj4EEPN3gmx11BasicVectorIfEES6_S6_P11nbnxn_cj4_tPK9nbnxn_sciPK12nbnxn_excl_tPKiPKS_IfLj2EEifffb.num_agpr, 0
	.set _Z15nbnxmKernelTestPK15HIP_vector_typeIfLj4EEPN3gmx11BasicVectorIfEES6_S6_P11nbnxn_cj4_tPK9nbnxn_sciPK12nbnxn_excl_tPKiPKS_IfLj2EEifffb.numbered_sgpr, 64
	.set _Z15nbnxmKernelTestPK15HIP_vector_typeIfLj4EEPN3gmx11BasicVectorIfEES6_S6_P11nbnxn_cj4_tPK9nbnxn_sciPK12nbnxn_excl_tPKiPKS_IfLj2EEifffb.num_named_barrier, 0
	.set _Z15nbnxmKernelTestPK15HIP_vector_typeIfLj4EEPN3gmx11BasicVectorIfEES6_S6_P11nbnxn_cj4_tPK9nbnxn_sciPK12nbnxn_excl_tPKiPKS_IfLj2EEifffb.private_seg_size, 0
	.set _Z15nbnxmKernelTestPK15HIP_vector_typeIfLj4EEPN3gmx11BasicVectorIfEES6_S6_P11nbnxn_cj4_tPK9nbnxn_sciPK12nbnxn_excl_tPKiPKS_IfLj2EEifffb.uses_vcc, 1
	.set _Z15nbnxmKernelTestPK15HIP_vector_typeIfLj4EEPN3gmx11BasicVectorIfEES6_S6_P11nbnxn_cj4_tPK9nbnxn_sciPK12nbnxn_excl_tPKiPKS_IfLj2EEifffb.uses_flat_scratch, 0
	.set _Z15nbnxmKernelTestPK15HIP_vector_typeIfLj4EEPN3gmx11BasicVectorIfEES6_S6_P11nbnxn_cj4_tPK9nbnxn_sciPK12nbnxn_excl_tPKiPKS_IfLj2EEifffb.has_dyn_sized_stack, 0
	.set _Z15nbnxmKernelTestPK15HIP_vector_typeIfLj4EEPN3gmx11BasicVectorIfEES6_S6_P11nbnxn_cj4_tPK9nbnxn_sciPK12nbnxn_excl_tPKiPKS_IfLj2EEifffb.has_recursion, 0
	.set _Z15nbnxmKernelTestPK15HIP_vector_typeIfLj4EEPN3gmx11BasicVectorIfEES6_S6_P11nbnxn_cj4_tPK9nbnxn_sciPK12nbnxn_excl_tPKiPKS_IfLj2EEifffb.has_indirect_call, 0
	.section	.AMDGPU.csdata,"",@progbits
; Kernel info:
; codeLenInByte = 7316
; TotalNumSgprs: 70
; NumVgprs: 88
; NumAgprs: 0
; TotalNumVgprs: 88
; ScratchSize: 0
; MemoryBound: 0
; FloatMode: 240
; IeeeMode: 1
; LDSByteSize: 2048 bytes/workgroup (compile time only)
; SGPRBlocks: 8
; VGPRBlocks: 10
; NumSGPRsForWavesPerEU: 70
; NumVGPRsForWavesPerEU: 88
; AccumOffset: 88
; Occupancy: 5
; WaveLimiterHint : 1
; COMPUTE_PGM_RSRC2:SCRATCH_EN: 0
; COMPUTE_PGM_RSRC2:USER_SGPR: 2
; COMPUTE_PGM_RSRC2:TRAP_HANDLER: 0
; COMPUTE_PGM_RSRC2:TGID_X_EN: 1
; COMPUTE_PGM_RSRC2:TGID_Y_EN: 0
; COMPUTE_PGM_RSRC2:TGID_Z_EN: 1
; COMPUTE_PGM_RSRC2:TIDIG_COMP_CNT: 1
; COMPUTE_PGM_RSRC3_GFX90A:ACCUM_OFFSET: 21
; COMPUTE_PGM_RSRC3_GFX90A:TG_SPLIT: 0
	.text
	.p2alignl 6, 3212836864
	.fill 256, 4, 3212836864
	.section	.AMDGPU.gpr_maximums,"",@progbits
	.set amdgpu.max_num_vgpr, 0
	.set amdgpu.max_num_agpr, 0
	.set amdgpu.max_num_sgpr, 0
	.text
	.type	__hip_cuid_93e13250c04b5780,@object ; @__hip_cuid_93e13250c04b5780
	.section	.bss,"aw",@nobits
	.globl	__hip_cuid_93e13250c04b5780
__hip_cuid_93e13250c04b5780:
	.byte	0                               ; 0x0
	.size	__hip_cuid_93e13250c04b5780, 1

	.ident	"AMD clang version 22.0.0git (https://github.com/RadeonOpenCompute/llvm-project roc-7.2.4 26084 f58b06dce1f9c15707c5f808fd002e18c2accf7e)"
	.section	".note.GNU-stack","",@progbits
	.addrsig
	.addrsig_sym __hip_cuid_93e13250c04b5780
	.amdgpu_metadata
---
amdhsa.kernels:
  - .agpr_count:     0
    .args:
      - .actual_access:  read_only
        .address_space:  global
        .offset:         0
        .size:           8
        .value_kind:     global_buffer
      - .address_space:  global
        .offset:         8
        .size:           8
        .value_kind:     global_buffer
      - .actual_access:  read_only
        .address_space:  global
        .offset:         16
        .size:           8
        .value_kind:     global_buffer
      - .address_space:  global
        .offset:         24
        .size:           8
        .value_kind:     global_buffer
      - .actual_access:  read_only
        .address_space:  global
        .offset:         32
        .size:           8
        .value_kind:     global_buffer
      - .actual_access:  read_only
        .address_space:  global
        .offset:         40
        .size:           8
        .value_kind:     global_buffer
      - .actual_access:  read_only
        .address_space:  global
        .offset:         48
        .size:           8
        .value_kind:     global_buffer
      - .actual_access:  read_only
        .address_space:  global
        .offset:         56
        .size:           8
        .value_kind:     global_buffer
      - .actual_access:  read_only
        .address_space:  global
        .offset:         64
        .size:           8
        .value_kind:     global_buffer
      - .offset:         72
        .size:           4
        .value_kind:     by_value
      - .offset:         76
        .size:           4
        .value_kind:     by_value
      - .offset:         80
        .size:           4
        .value_kind:     by_value
      - .offset:         84
        .size:           4
        .value_kind:     by_value
      - .offset:         88
        .size:           1
        .value_kind:     by_value
    .group_segment_fixed_size: 2048
    .kernarg_segment_align: 8
    .kernarg_segment_size: 92
    .language:       OpenCL C
    .language_version:
      - 2
      - 0
    .max_flat_workgroup_size: 1024
    .name:           _Z15nbnxmKernelTestPK15HIP_vector_typeIfLj4EEPN3gmx11BasicVectorIfEES6_S6_P11nbnxn_cj4_tPK9nbnxn_sciPK12nbnxn_excl_tPKiPKS_IfLj2EEifffb
    .private_segment_fixed_size: 0
    .sgpr_count:     70
    .sgpr_spill_count: 0
    .symbol:         _Z15nbnxmKernelTestPK15HIP_vector_typeIfLj4EEPN3gmx11BasicVectorIfEES6_S6_P11nbnxn_cj4_tPK9nbnxn_sciPK12nbnxn_excl_tPKiPKS_IfLj2EEifffb.kd
    .uniform_work_group_size: 1
    .uses_dynamic_stack: false
    .vgpr_count:     88
    .vgpr_spill_count: 0
    .wavefront_size: 64
amdhsa.target:   amdgcn-amd-amdhsa--gfx950
amdhsa.version:
  - 1
  - 2
...

	.end_amdgpu_metadata
